;; amdgpu-corpus repo=ROCm/rocFFT kind=compiled arch=gfx906 opt=O3
	.text
	.amdgcn_target "amdgcn-amd-amdhsa--gfx906"
	.amdhsa_code_object_version 6
	.protected	bluestein_single_fwd_len65_dim1_sp_op_CI_CI ; -- Begin function bluestein_single_fwd_len65_dim1_sp_op_CI_CI
	.globl	bluestein_single_fwd_len65_dim1_sp_op_CI_CI
	.p2align	8
	.type	bluestein_single_fwd_len65_dim1_sp_op_CI_CI,@function
bluestein_single_fwd_len65_dim1_sp_op_CI_CI: ; @bluestein_single_fwd_len65_dim1_sp_op_CI_CI
; %bb.0:
	v_mul_u32_u24_e32 v1, 0x13b2, v0
	s_load_dwordx4 s[0:3], s[4:5], 0x28
	v_lshrrev_b32_e32 v1, 16, v1
	v_mad_u64_u32 v[40:41], s[6:7], s6, 19, v[1:2]
	v_mov_b32_e32 v41, 0
	s_waitcnt lgkmcnt(0)
	v_cmp_gt_u64_e32 vcc, s[0:1], v[40:41]
	s_and_saveexec_b64 s[0:1], vcc
	s_cbranch_execz .LBB0_15
; %bb.1:
	s_mov_b32 s0, 0xaf286bcb
	v_mul_hi_u32 v2, v40, s0
	s_load_dwordx2 s[6:7], s[4:5], 0x0
	s_load_dwordx2 s[12:13], s[4:5], 0x38
	v_mul_lo_u16_e32 v1, 13, v1
	v_sub_u16_e32 v45, v0, v1
	v_sub_u32_e32 v3, v40, v2
	v_lshrrev_b32_e32 v3, 1, v3
	v_add_u32_e32 v2, v3, v2
	v_lshrrev_b32_e32 v2, 4, v2
	v_mul_lo_u32 v2, v2, 19
	v_cmp_gt_u16_e32 vcc, 5, v45
	v_lshlrev_b32_e32 v44, 3, v45
	v_or_b32_e32 v43, 40, v45
	v_sub_u32_e32 v0, v40, v2
	v_mul_u32_u24_e32 v46, 0x41, v0
	v_lshlrev_b32_e32 v47, 3, v46
	s_and_saveexec_b64 s[14:15], vcc
	s_cbranch_execz .LBB0_3
; %bb.2:
	s_load_dwordx2 s[0:1], s[4:5], 0x18
	s_waitcnt lgkmcnt(0)
	s_load_dwordx4 s[8:11], s[0:1], 0x0
	s_waitcnt lgkmcnt(0)
	v_mad_u64_u32 v[0:1], s[0:1], s10, v40, 0
	v_mad_u64_u32 v[2:3], s[0:1], s8, v45, 0
	;; [unrolled: 1-line block ×4, first 2 shown]
	v_mov_b32_e32 v1, v4
	v_lshlrev_b64 v[0:1], 3, v[0:1]
	v_mov_b32_e32 v3, v5
	v_mov_b32_e32 v6, s3
	v_lshlrev_b64 v[2:3], 3, v[2:3]
	v_add_co_u32_e64 v37, s[0:1], s2, v0
	v_addc_co_u32_e64 v38, s[0:1], v6, v1, s[0:1]
	v_add_co_u32_e64 v0, s[0:1], v37, v2
	v_addc_co_u32_e64 v1, s[0:1], v38, v3, s[0:1]
	s_mul_i32 s0, s9, 40
	s_mul_hi_u32 s2, s8, 40
	s_add_i32 s2, s2, s0
	s_mul_i32 s3, s8, 40
	v_mov_b32_e32 v3, s2
	v_add_co_u32_e64 v2, s[0:1], s3, v0
	v_addc_co_u32_e64 v3, s[0:1], v1, v3, s[0:1]
	v_mov_b32_e32 v13, s2
	v_add_co_u32_e64 v12, s[0:1], s3, v2
	v_addc_co_u32_e64 v13, s[0:1], v3, v13, s[0:1]
	;; [unrolled: 3-line block ×3, first 2 shown]
	global_load_dwordx2 v[4:5], v44, s[6:7]
	global_load_dwordx2 v[6:7], v44, s[6:7] offset:40
	global_load_dwordx2 v[8:9], v44, s[6:7] offset:80
	;; [unrolled: 1-line block ×3, first 2 shown]
	v_mov_b32_e32 v24, s2
	global_load_dwordx2 v[16:17], v[0:1], off
	global_load_dwordx2 v[18:19], v[2:3], off
	;; [unrolled: 1-line block ×4, first 2 shown]
	v_add_co_u32_e64 v0, s[0:1], s3, v14
	v_addc_co_u32_e64 v1, s[0:1], v15, v24, s[0:1]
	v_mov_b32_e32 v25, s2
	global_load_dwordx2 v[2:3], v[0:1], off
	v_add_co_u32_e64 v0, s[0:1], s3, v0
	v_addc_co_u32_e64 v1, s[0:1], v1, v25, s[0:1]
	v_mov_b32_e32 v26, s2
	global_load_dwordx2 v[12:13], v[0:1], off
	v_add_co_u32_e64 v0, s[0:1], s3, v0
	v_addc_co_u32_e64 v1, s[0:1], v1, v26, s[0:1]
	global_load_dwordx2 v[14:15], v[0:1], off
	global_load_dwordx2 v[26:27], v44, s[6:7] offset:160
	global_load_dwordx2 v[28:29], v44, s[6:7] offset:200
	;; [unrolled: 1-line block ×4, first 2 shown]
	v_mad_u64_u32 v[24:25], s[0:1], s8, v43, 0
	v_mov_b32_e32 v36, s2
	s_waitcnt vmcnt(3)
	v_mad_u64_u32 v[34:35], s[0:1], s9, v43, v[25:26]
	v_add_co_u32_e64 v0, s[0:1], s3, v0
	v_mov_b32_e32 v25, v34
	v_addc_co_u32_e64 v1, s[0:1], v1, v36, s[0:1]
	v_lshlrev_b64 v[24:25], 3, v[24:25]
	v_mov_b32_e32 v34, 0x50
	global_load_dwordx2 v[35:36], v[0:1], off
	v_mad_u64_u32 v[0:1], s[0:1], s8, v34, v[0:1]
	v_add_co_u32_e64 v24, s[0:1], v37, v24
	v_addc_co_u32_e64 v25, s[0:1], v38, v25, s[0:1]
	s_mul_i32 s0, s9, 0x50
	v_add_u32_e32 v1, s0, v1
	global_load_dwordx2 v[24:25], v[24:25], off
	s_nop 0
	global_load_dwordx2 v[37:38], v[0:1], off
	global_load_dwordx2 v[41:42], v44, s[6:7] offset:320
	global_load_dwordx2 v[48:49], v44, s[6:7] offset:360
	v_mov_b32_e32 v34, s2
	v_add_co_u32_e64 v0, s[0:1], s3, v0
	v_addc_co_u32_e64 v1, s[0:1], v1, v34, s[0:1]
	global_load_dwordx2 v[50:51], v[0:1], off
	v_add_co_u32_e64 v0, s[0:1], s3, v0
	v_addc_co_u32_e64 v1, s[0:1], v1, v34, s[0:1]
	global_load_dwordx2 v[52:53], v44, s[6:7] offset:400
	global_load_dwordx2 v[54:55], v[0:1], off
	global_load_dwordx2 v[56:57], v44, s[6:7] offset:440
	v_add_co_u32_e64 v0, s[0:1], s3, v0
	v_addc_co_u32_e64 v1, s[0:1], v1, v34, s[0:1]
	global_load_dwordx2 v[58:59], v[0:1], off
	global_load_dwordx2 v[60:61], v44, s[6:7] offset:480
	v_mul_f32_e32 v0, v16, v5
	v_fma_f32 v1, v17, v4, -v0
	v_mul_f32_e32 v0, v17, v5
	v_fmac_f32_e32 v0, v16, v4
	v_mul_f32_e32 v4, v18, v7
	v_fma_f32 v5, v19, v6, -v4
	v_mul_f32_e32 v4, v19, v7
	v_fmac_f32_e32 v4, v18, v6
	;; [unrolled: 4-line block ×3, first 2 shown]
	v_lshl_add_u32 v8, v45, 3, v47
	v_add_u32_e32 v9, v47, v44
	ds_write_b64 v8, v[0:1]
	ds_write2_b64 v9, v[4:5], v[6:7] offset0:5 offset1:10
	v_mul_f32_e32 v0, v22, v11
	v_fma_f32 v1, v23, v10, -v0
	v_mul_f32_e32 v0, v23, v11
	v_mul_f32_e32 v4, v3, v27
	v_mul_f32_e32 v5, v2, v27
	v_fmac_f32_e32 v0, v22, v10
	v_fmac_f32_e32 v4, v2, v26
	v_fma_f32 v5, v3, v26, -v5
	s_waitcnt vmcnt(13)
	v_mul_f32_e32 v2, v13, v29
	v_mul_f32_e32 v3, v12, v29
	ds_write2_b64 v9, v[0:1], v[4:5] offset0:15 offset1:20
	s_waitcnt vmcnt(12)
	v_mul_f32_e32 v0, v15, v31
	v_mul_f32_e32 v1, v14, v31
	v_fmac_f32_e32 v2, v12, v28
	v_fma_f32 v3, v13, v28, -v3
	v_fmac_f32_e32 v0, v14, v30
	v_fma_f32 v1, v15, v30, -v1
	ds_write2_b64 v9, v[2:3], v[0:1] offset0:25 offset1:30
	s_waitcnt vmcnt(10)
	v_mul_f32_e32 v0, v36, v33
	v_mul_f32_e32 v1, v35, v33
	v_fmac_f32_e32 v0, v35, v32
	v_fma_f32 v1, v36, v32, -v1
	s_waitcnt vmcnt(7)
	v_mul_f32_e32 v2, v25, v42
	v_mul_f32_e32 v3, v24, v42
	v_fmac_f32_e32 v2, v24, v41
	v_fma_f32 v3, v25, v41, -v3
	ds_write2_b64 v9, v[0:1], v[2:3] offset0:35 offset1:40
	s_waitcnt vmcnt(6)
	v_mul_f32_e32 v0, v38, v49
	v_mul_f32_e32 v1, v37, v49
	v_fmac_f32_e32 v0, v37, v48
	v_fma_f32 v1, v38, v48, -v1
	s_waitcnt vmcnt(4)
	v_mul_f32_e32 v2, v51, v53
	v_mul_f32_e32 v3, v50, v53
	v_fmac_f32_e32 v2, v50, v52
	v_fma_f32 v3, v51, v52, -v3
	ds_write2_b64 v9, v[0:1], v[2:3] offset0:45 offset1:50
	s_waitcnt vmcnt(2)
	v_mul_f32_e32 v0, v55, v57
	v_mul_f32_e32 v1, v54, v57
	s_waitcnt vmcnt(0)
	v_mul_f32_e32 v2, v59, v61
	v_mul_f32_e32 v3, v58, v61
	v_fmac_f32_e32 v0, v54, v56
	v_fma_f32 v1, v55, v56, -v1
	v_fmac_f32_e32 v2, v58, v60
	v_fma_f32 v3, v59, v60, -v3
	ds_write2_b64 v9, v[0:1], v[2:3] offset0:55 offset1:60
.LBB0_3:
	s_or_b64 exec, exec, s[14:15]
	s_load_dwordx2 s[0:1], s[4:5], 0x20
	s_load_dwordx2 s[8:9], s[4:5], 0x8
	v_mov_b32_e32 v12, 0
	v_mov_b32_e32 v13, 0
	s_waitcnt lgkmcnt(0)
	s_barrier
	s_waitcnt lgkmcnt(0)
                                        ; implicit-def: $vgpr39
                                        ; implicit-def: $vgpr35
                                        ; implicit-def: $vgpr27
                                        ; implicit-def: $vgpr8
                                        ; implicit-def: $vgpr30
                                        ; implicit-def: $vgpr18
	s_and_saveexec_b64 s[2:3], vcc
	s_cbranch_execz .LBB0_5
; %bb.4:
	v_lshl_add_u32 v0, v46, 3, v44
	ds_read2_b64 v[12:15], v0 offset1:5
	ds_read2_b64 v[16:19], v0 offset0:10 offset1:15
	ds_read2_b64 v[28:31], v0 offset0:20 offset1:25
	;; [unrolled: 1-line block ×5, first 2 shown]
	ds_read_b64 v[8:9], v0 offset:480
.LBB0_5:
	s_or_b64 exec, exec, s[2:3]
	s_waitcnt lgkmcnt(0)
	v_sub_f32_e32 v1, v15, v9
	v_mul_f32_e32 v49, 0xbeedf032, v1
	v_sub_f32_e32 v65, v17, v39
	v_add_f32_e32 v59, v8, v14
	v_sub_f32_e32 v0, v14, v8
	v_mov_b32_e32 v2, v49
	v_mul_f32_e32 v56, 0xbf52af12, v65
	v_add_f32_e32 v60, v9, v15
	s_mov_b32 s10, 0x3f62ad3f
	v_mul_f32_e32 v50, 0xbeedf032, v0
	v_fmac_f32_e32 v2, 0x3f62ad3f, v59
	v_add_f32_e32 v68, v38, v16
	v_sub_f32_e32 v48, v16, v38
	v_mov_b32_e32 v61, v56
	v_add_f32_e32 v2, v2, v12
	v_fma_f32 v3, v60, s10, -v50
	s_mov_b32 s4, 0x3f116cb1
	v_add_f32_e32 v69, v39, v17
	v_mul_f32_e32 v57, 0xbf52af12, v48
	v_fmac_f32_e32 v61, 0x3f116cb1, v68
	v_add_f32_e32 v3, v3, v13
	v_mul_f32_e32 v51, 0xbf52af12, v1
	v_add_f32_e32 v2, v61, v2
	v_fma_f32 v61, v69, s4, -v57
	v_mov_b32_e32 v4, v51
	v_add_f32_e32 v3, v61, v3
	v_mul_f32_e32 v61, 0xbf6f5d39, v65
	v_mul_f32_e32 v52, 0xbf52af12, v0
	v_fmac_f32_e32 v4, 0x3f116cb1, v59
	v_mov_b32_e32 v63, v61
	v_add_f32_e32 v4, v4, v12
	v_fma_f32 v5, v60, s4, -v52
	s_mov_b32 s3, 0xbeb58ec6
	v_mul_f32_e32 v62, 0xbf6f5d39, v48
	v_fmac_f32_e32 v63, 0xbeb58ec6, v68
	v_add_f32_e32 v5, v5, v13
	v_mul_f32_e32 v53, 0xbf7e222b, v1
	v_add_f32_e32 v4, v63, v4
	v_fma_f32 v63, v69, s3, -v62
	v_mov_b32_e32 v6, v53
	v_add_f32_e32 v5, v63, v5
	v_mul_f32_e32 v63, 0xbe750f2a, v65
	s_mov_b32 s2, 0x3df6dbef
	v_mul_f32_e32 v54, 0xbf7e222b, v0
	v_fmac_f32_e32 v6, 0x3df6dbef, v59
	v_mov_b32_e32 v66, v63
	v_add_f32_e32 v6, v6, v12
	v_fma_f32 v7, v60, s2, -v54
	s_mov_b32 s11, 0xbf788fa5
	v_mul_f32_e32 v64, 0xbe750f2a, v48
	v_fmac_f32_e32 v66, 0xbf788fa5, v68
	v_add_f32_e32 v7, v7, v13
	v_mul_f32_e32 v55, 0xbf6f5d39, v1
	v_add_f32_e32 v6, v66, v6
	v_fma_f32 v66, v69, s11, -v64
	v_mov_b32_e32 v10, v55
	v_add_f32_e32 v7, v66, v7
	v_mul_f32_e32 v66, 0x3f29c268, v65
	v_mul_f32_e32 v58, 0xbf6f5d39, v0
	v_fmac_f32_e32 v10, 0xbeb58ec6, v59
	v_mov_b32_e32 v67, v66
	v_add_f32_e32 v10, v10, v12
	v_fma_f32 v11, v60, s3, -v58
	s_mov_b32 s5, 0xbf3f9e67
	v_mul_f32_e32 v70, 0x3f29c268, v48
	v_fmac_f32_e32 v67, 0xbf3f9e67, v68
	v_add_f32_e32 v11, v11, v13
	v_mul_f32_e32 v20, 0xbf29c268, v1
	v_add_f32_e32 v10, v67, v10
	v_fma_f32 v67, v69, s5, -v70
	v_fma_f32 v21, v59, s5, -v20
	v_add_f32_e32 v11, v67, v11
	v_mul_f32_e32 v67, 0x3f7e222b, v65
	v_add_f32_e32 v21, v21, v12
	v_mul_f32_e32 v22, 0xbf29c268, v0
	v_fmac_f32_e32 v20, 0xbf3f9e67, v59
	v_fma_f32 v71, v68, s2, -v67
	v_mov_b32_e32 v23, v22
	v_add_f32_e32 v20, v20, v12
	v_fma_f32 v22, v60, s5, -v22
	v_mul_f32_e32 v1, 0xbe750f2a, v1
	v_add_f32_e32 v21, v71, v21
	v_mul_f32_e32 v71, 0x3f7e222b, v48
	v_fmac_f32_e32 v67, 0x3df6dbef, v68
	v_add_f32_e32 v22, v22, v13
	v_fma_f32 v41, v59, s11, -v1
	v_mul_f32_e32 v0, 0xbe750f2a, v0
	v_fmac_f32_e32 v1, 0xbf788fa5, v59
	v_add_f32_e32 v20, v67, v20
	v_fma_f32 v67, v69, s2, -v71
	v_mul_f32_e32 v65, 0x3eedf032, v65
	v_add_f32_e32 v41, v41, v12
	v_mov_b32_e32 v42, v0
	v_add_f32_e32 v1, v1, v12
	v_fma_f32 v0, v60, s11, -v0
	v_add_f32_e32 v22, v67, v22
	v_fma_f32 v67, v68, s10, -v65
	v_mul_f32_e32 v48, 0x3eedf032, v48
	v_fmac_f32_e32 v65, 0x3f62ad3f, v68
	v_sub_f32_e32 v75, v19, v37
	v_fmac_f32_e32 v42, 0xbf788fa5, v60
	v_add_f32_e32 v0, v0, v13
	v_add_f32_e32 v41, v67, v41
	v_mov_b32_e32 v67, v48
	v_add_f32_e32 v1, v65, v1
	v_fma_f32 v48, v69, s10, -v48
	v_mul_f32_e32 v65, 0xbf7e222b, v75
	v_add_f32_e32 v42, v42, v13
	v_mov_b32_e32 v72, v71
	v_fmac_f32_e32 v67, 0x3f62ad3f, v69
	v_add_f32_e32 v0, v48, v0
	v_add_f32_e32 v79, v36, v18
	v_sub_f32_e32 v48, v18, v36
	v_mov_b32_e32 v71, v65
	v_add_f32_e32 v42, v67, v42
	v_add_f32_e32 v80, v37, v19
	v_mul_f32_e32 v67, 0xbf7e222b, v48
	v_fmac_f32_e32 v71, 0x3df6dbef, v79
	v_add_f32_e32 v2, v71, v2
	v_fma_f32 v71, v80, s2, -v67
	v_fmac_f32_e32 v23, 0xbf3f9e67, v60
	v_add_f32_e32 v3, v71, v3
	v_mul_f32_e32 v71, 0xbe750f2a, v75
	v_add_f32_e32 v23, v23, v13
	v_fmac_f32_e32 v72, 0x3df6dbef, v69
	v_mov_b32_e32 v73, v71
	v_add_f32_e32 v23, v72, v23
	v_mul_f32_e32 v72, 0xbe750f2a, v48
	v_fmac_f32_e32 v73, 0xbf788fa5, v79
	v_add_f32_e32 v4, v73, v4
	v_fma_f32 v73, v80, s11, -v72
	v_add_f32_e32 v5, v73, v5
	v_mul_f32_e32 v73, 0x3f6f5d39, v75
	v_mov_b32_e32 v76, v73
	v_mul_f32_e32 v74, 0x3f6f5d39, v48
	v_fmac_f32_e32 v76, 0xbeb58ec6, v79
	v_add_f32_e32 v6, v76, v6
	v_fma_f32 v76, v80, s3, -v74
	v_add_f32_e32 v7, v76, v7
	v_mul_f32_e32 v76, 0x3eedf032, v75
	v_mov_b32_e32 v77, v76
	v_mul_f32_e32 v78, 0x3eedf032, v48
	v_fmac_f32_e32 v77, 0x3f62ad3f, v79
	v_add_f32_e32 v10, v77, v10
	v_fma_f32 v77, v80, s10, -v78
	v_add_f32_e32 v11, v77, v11
	v_mul_f32_e32 v77, 0xbf52af12, v75
	v_fma_f32 v81, v79, s4, -v77
	v_add_f32_e32 v21, v81, v21
	v_mul_f32_e32 v81, 0xbf52af12, v48
	v_fmac_f32_e32 v77, 0x3f116cb1, v79
	v_add_f32_e32 v20, v77, v20
	v_fma_f32 v77, v80, s4, -v81
	v_mul_f32_e32 v75, 0xbf29c268, v75
	v_add_f32_e32 v22, v77, v22
	v_fma_f32 v77, v79, s5, -v75
	v_mul_f32_e32 v48, 0xbf29c268, v48
	v_fmac_f32_e32 v75, 0xbf3f9e67, v79
	v_sub_f32_e32 v88, v29, v35
	v_add_f32_e32 v41, v77, v41
	v_mov_b32_e32 v77, v48
	v_add_f32_e32 v1, v75, v1
	v_fma_f32 v48, v80, s5, -v48
	v_mul_f32_e32 v75, 0xbf6f5d39, v88
	v_mov_b32_e32 v82, v81
	v_fmac_f32_e32 v77, 0xbf3f9e67, v80
	v_add_f32_e32 v0, v48, v0
	v_add_f32_e32 v85, v34, v28
	v_sub_f32_e32 v48, v28, v34
	v_mov_b32_e32 v81, v75
	v_add_f32_e32 v42, v77, v42
	v_add_f32_e32 v86, v35, v29
	v_mul_f32_e32 v77, 0xbf6f5d39, v48
	v_fmac_f32_e32 v81, 0xbeb58ec6, v85
	v_add_f32_e32 v2, v81, v2
	v_fma_f32 v81, v86, s3, -v77
	v_add_f32_e32 v3, v81, v3
	v_mul_f32_e32 v81, 0x3f29c268, v88
	v_fmac_f32_e32 v82, 0x3f116cb1, v80
	v_mov_b32_e32 v83, v81
	v_add_f32_e32 v23, v82, v23
	v_mul_f32_e32 v82, 0x3f29c268, v48
	v_fmac_f32_e32 v83, 0xbf3f9e67, v85
	v_add_f32_e32 v4, v83, v4
	v_fma_f32 v83, v86, s5, -v82
	v_add_f32_e32 v5, v83, v5
	v_mul_f32_e32 v83, 0x3eedf032, v88
	v_mov_b32_e32 v87, v83
	v_mul_f32_e32 v84, 0x3eedf032, v48
	v_fmac_f32_e32 v87, 0x3f62ad3f, v85
	v_add_f32_e32 v6, v87, v6
	v_fma_f32 v87, v86, s10, -v84
	v_add_f32_e32 v7, v87, v7
	v_mul_f32_e32 v87, 0xbf7e222b, v88
	v_mov_b32_e32 v89, v87
	v_mul_f32_e32 v90, 0xbf7e222b, v48
	v_fmac_f32_e32 v89, 0x3df6dbef, v85
	v_add_f32_e32 v10, v89, v10
	v_fma_f32 v89, v86, s2, -v90
	v_add_f32_e32 v11, v89, v11
	v_mul_f32_e32 v89, 0x3e750f2a, v88
	v_fma_f32 v91, v85, s11, -v89
	v_add_f32_e32 v21, v91, v21
	v_mul_f32_e32 v91, 0x3e750f2a, v48
	v_fmac_f32_e32 v89, 0xbf788fa5, v85
	v_add_f32_e32 v20, v89, v20
	v_fma_f32 v89, v86, s11, -v91
	v_mul_f32_e32 v88, 0x3f52af12, v88
	v_add_f32_e32 v22, v89, v22
	v_fma_f32 v89, v85, s4, -v88
	v_mul_f32_e32 v48, 0x3f52af12, v48
	v_fmac_f32_e32 v88, 0x3f116cb1, v85
	v_sub_f32_e32 v98, v31, v33
	v_add_f32_e32 v41, v89, v41
	v_mov_b32_e32 v89, v48
	v_add_f32_e32 v1, v88, v1
	v_fma_f32 v48, v86, s4, -v48
	v_mul_f32_e32 v88, 0xbf29c268, v98
	v_mov_b32_e32 v92, v91
	v_fmac_f32_e32 v89, 0x3f116cb1, v86
	v_add_f32_e32 v0, v48, v0
	v_add_f32_e32 v94, v32, v30
	v_sub_f32_e32 v48, v30, v32
	v_mov_b32_e32 v91, v88
	v_add_f32_e32 v42, v89, v42
	v_add_f32_e32 v96, v33, v31
	v_mul_f32_e32 v89, 0xbf29c268, v48
	v_fmac_f32_e32 v91, 0xbf3f9e67, v94
	v_add_f32_e32 v2, v91, v2
	v_fma_f32 v91, v96, s5, -v89
	v_add_f32_e32 v3, v91, v3
	v_mul_f32_e32 v91, 0x3f7e222b, v98
	v_fmac_f32_e32 v92, 0xbf788fa5, v86
	v_mov_b32_e32 v93, v91
	v_add_f32_e32 v23, v92, v23
	v_mul_f32_e32 v92, 0x3f7e222b, v48
	v_fmac_f32_e32 v93, 0x3df6dbef, v94
	v_add_f32_e32 v4, v93, v4
	v_fma_f32 v93, v96, s2, -v92
	v_add_f32_e32 v5, v93, v5
	v_mul_f32_e32 v93, 0xbf52af12, v98
	v_mov_b32_e32 v97, v93
	v_mul_f32_e32 v95, 0xbf52af12, v48
	v_fmac_f32_e32 v97, 0x3f116cb1, v94
	v_add_f32_e32 v6, v97, v6
	v_fma_f32 v97, v96, s4, -v95
	v_add_f32_e32 v7, v97, v7
	v_mul_f32_e32 v97, 0x3e750f2a, v98
	v_mov_b32_e32 v99, v97
	v_mul_f32_e32 v100, 0x3e750f2a, v48
	v_fmac_f32_e32 v99, 0xbf788fa5, v94
	v_add_f32_e32 v10, v99, v10
	v_fma_f32 v99, v96, s11, -v100
	v_add_f32_e32 v11, v99, v11
	v_mul_f32_e32 v99, 0x3eedf032, v98
	v_fma_f32 v101, v94, s10, -v99
	v_add_f32_e32 v21, v101, v21
	v_mul_f32_e32 v101, 0x3eedf032, v48
	v_fmac_f32_e32 v99, 0x3f62ad3f, v94
	v_add_f32_e32 v20, v99, v20
	v_fma_f32 v99, v96, s10, -v101
	v_mul_f32_e32 v98, 0xbf6f5d39, v98
	v_add_f32_e32 v22, v99, v22
	v_fma_f32 v99, v94, s3, -v98
	v_add_f32_e32 v109, v99, v41
	v_mul_f32_e32 v41, 0xbf6f5d39, v48
	v_fmac_f32_e32 v98, 0xbeb58ec6, v94
	v_sub_f32_e32 v113, v25, v27
	v_add_f32_e32 v110, v98, v1
	v_fma_f32 v1, v96, s3, -v41
	v_mul_f32_e32 v98, 0xbe750f2a, v113
	v_mov_b32_e32 v102, v101
	v_add_f32_e32 v111, v1, v0
	v_add_f32_e32 v101, v26, v24
	v_sub_f32_e32 v112, v24, v26
	v_mov_b32_e32 v0, v98
	v_fmac_f32_e32 v102, 0x3f62ad3f, v96
	v_mov_b32_e32 v48, v41
	v_add_f32_e32 v103, v27, v25
	v_mul_f32_e32 v99, 0xbe750f2a, v112
	v_fmac_f32_e32 v0, 0xbf788fa5, v101
	v_add_f32_e32 v23, v102, v23
	v_fmac_f32_e32 v48, 0xbeb58ec6, v96
	v_add_f32_e32 v41, v0, v2
	v_fma_f32 v0, v103, s11, -v99
	v_mul_f32_e32 v102, 0x3eedf032, v113
	v_add_f32_e32 v48, v48, v42
	v_add_f32_e32 v42, v0, v3
	v_mov_b32_e32 v0, v102
	v_mul_f32_e32 v104, 0x3eedf032, v112
	v_fmac_f32_e32 v0, 0x3f62ad3f, v101
	v_add_f32_e32 v2, v0, v4
	v_fma_f32 v0, v103, s10, -v104
	v_mul_f32_e32 v105, 0xbf29c268, v113
	v_mul_f32_e32 v107, 0x3f52af12, v113
	v_add_f32_e32 v3, v0, v5
	v_mov_b32_e32 v0, v105
	v_mov_b32_e32 v4, v107
	v_mul_f32_e32 v106, 0xbf29c268, v112
	v_fmac_f32_e32 v0, 0xbf3f9e67, v101
	v_mul_f32_e32 v108, 0x3f52af12, v112
	v_fmac_f32_e32 v4, 0x3f116cb1, v101
	v_add_f32_e32 v0, v0, v6
	v_fma_f32 v1, v103, s5, -v106
	v_add_f32_e32 v6, v4, v10
	v_fma_f32 v4, v103, s4, -v108
	v_add_f32_e32 v1, v1, v7
	v_add_f32_e32 v7, v4, v11
	v_mul_f32_e32 v4, 0xbf6f5d39, v113
	v_fma_f32 v5, v101, s3, -v4
	v_add_f32_e32 v10, v5, v21
	v_mul_f32_e32 v5, 0xbf6f5d39, v112
	v_mov_b32_e32 v11, v5
	v_fmac_f32_e32 v11, 0xbeb58ec6, v103
	v_add_f32_e32 v11, v11, v23
	v_fma_f32 v5, v103, s3, -v5
	v_mul_f32_e32 v23, 0x3f7e222b, v112
	v_fmac_f32_e32 v4, 0xbeb58ec6, v101
	v_add_f32_e32 v5, v5, v22
	v_mul_f32_e32 v22, 0x3f7e222b, v113
	v_mov_b32_e32 v21, v23
	v_add_f32_e32 v4, v4, v20
	v_fma_f32 v20, v101, s2, -v22
	v_fmac_f32_e32 v21, 0x3df6dbef, v103
	v_fmac_f32_e32 v22, 0x3df6dbef, v101
	v_fma_f32 v23, v103, s2, -v23
	v_add_f32_e32 v20, v20, v109
	v_add_f32_e32 v21, v21, v48
	v_add_f32_e32 v22, v22, v110
	v_add_f32_e32 v23, v23, v111
	v_mul_lo_u16_e32 v48, 13, v45
	s_barrier
	s_and_saveexec_b64 s[2:3], vcc
	s_cbranch_execz .LBB0_7
; %bb.6:
	v_mul_f32_e32 v110, 0x3f62ad3f, v60
	v_mul_f32_e32 v112, 0x3f116cb1, v60
	;; [unrolled: 1-line block ×8, first 2 shown]
	v_add_f32_e32 v58, v58, v60
	v_mul_f32_e32 v122, 0x3df6dbef, v80
	v_mul_f32_e32 v124, 0xbf788fa5, v80
	;; [unrolled: 1-line block ×4, first 2 shown]
	v_add_f32_e32 v69, v70, v69
	v_add_f32_e32 v58, v58, v13
	;; [unrolled: 1-line block ×4, first 2 shown]
	v_mul_f32_e32 v109, 0x3f62ad3f, v59
	v_mul_f32_e32 v111, 0x3f116cb1, v59
	;; [unrolled: 1-line block ×4, first 2 shown]
	v_add_f32_e32 v58, v78, v58
	v_mul_f32_e32 v78, 0x3df6dbef, v86
	v_mul_f32_e32 v115, 0x3f116cb1, v68
	;; [unrolled: 1-line block ×5, first 2 shown]
	v_add_f32_e32 v78, v90, v78
	v_sub_f32_e32 v55, v59, v55
	v_mul_f32_e32 v121, 0x3df6dbef, v79
	v_mul_f32_e32 v123, 0xbf788fa5, v79
	v_mul_f32_e32 v125, 0xbeb58ec6, v79
	v_mul_f32_e32 v79, 0x3f62ad3f, v79
	v_add_f32_e32 v58, v78, v58
	v_mul_f32_e32 v78, 0xbf788fa5, v96
	v_sub_f32_e32 v59, v68, v66
	v_add_f32_e32 v55, v55, v12
	v_mul_f32_e32 v60, 0xbeb58ec6, v85
	v_mul_f32_e32 v69, 0xbf3f9e67, v85
	;; [unrolled: 1-line block ×4, first 2 shown]
	v_add_f32_e32 v78, v100, v78
	v_add_f32_e32 v55, v59, v55
	v_sub_f32_e32 v76, v79, v76
	v_add_f32_e32 v58, v78, v58
	v_mul_f32_e32 v78, 0x3f116cb1, v103
	v_mul_f32_e32 v59, 0xbf788fa5, v94
	v_add_f32_e32 v55, v76, v55
	v_sub_f32_e32 v85, v85, v87
	v_mul_f32_e32 v100, 0xbf3f9e67, v94
	v_add_f32_e32 v78, v108, v78
	v_mul_f32_e32 v127, 0x3df6dbef, v94
	v_mul_f32_e32 v68, 0x3f116cb1, v94
	v_mul_f32_e32 v79, 0xbf788fa5, v101
	v_mul_f32_e32 v87, 0x3f62ad3f, v101
	v_add_f32_e32 v55, v85, v55
	v_sub_f32_e32 v94, v59, v97
	v_mul_f32_e32 v97, 0xbf3f9e67, v101
	v_mul_f32_e32 v101, 0x3f116cb1, v101
	v_add_f32_e32 v59, v78, v58
	v_add_f32_e32 v55, v94, v55
	v_sub_f32_e32 v58, v101, v107
	v_add_f32_e32 v54, v54, v114
	v_add_f32_e32 v58, v58, v55
	;; [unrolled: 1-line block ×4, first 2 shown]
	v_mul_f32_e32 v70, 0xbeb58ec6, v86
	v_mul_f32_e32 v80, 0xbf3f9e67, v86
	v_mul_f32_e32 v86, 0x3f62ad3f, v86
	v_add_f32_e32 v54, v55, v54
	v_add_f32_e32 v55, v74, v126
	v_mul_f32_e32 v108, 0xbf3f9e67, v96
	v_mul_f32_e32 v66, 0x3df6dbef, v96
	v_mul_f32_e32 v96, 0x3f116cb1, v96
	v_add_f32_e32 v54, v55, v54
	v_add_f32_e32 v55, v84, v86
	;; [unrolled: 5-line block ×3, first 2 shown]
	v_add_f32_e32 v54, v55, v54
	v_add_f32_e32 v55, v106, v103
	v_sub_f32_e32 v53, v113, v53
	v_add_f32_e32 v54, v55, v54
	v_add_f32_e32 v53, v53, v12
	v_sub_f32_e32 v55, v119, v63
	v_add_f32_e32 v53, v55, v53
	v_sub_f32_e32 v55, v125, v73
	;; [unrolled: 2-line block ×5, first 2 shown]
	v_add_f32_e32 v52, v52, v112
	v_add_f32_e32 v53, v55, v53
	;; [unrolled: 1-line block ×12, first 2 shown]
	v_sub_f32_e32 v51, v111, v51
	v_add_f32_e32 v52, v55, v52
	v_add_f32_e32 v51, v51, v12
	v_sub_f32_e32 v55, v117, v61
	v_add_f32_e32 v51, v55, v51
	v_sub_f32_e32 v55, v123, v71
	;; [unrolled: 2-line block ×6, first 2 shown]
	v_add_f32_e32 v50, v50, v13
	v_add_f32_e32 v49, v49, v12
	;; [unrolled: 1-line block ×25, first 2 shown]
	v_sub_f32_e32 v55, v115, v56
	v_add_f32_e32 v13, v27, v13
	v_add_f32_e32 v12, v26, v12
	v_add_f32_e32 v49, v55, v49
	v_sub_f32_e32 v55, v121, v65
	v_add_f32_e32 v13, v33, v13
	v_add_f32_e32 v12, v32, v12
	v_add_f32_e32 v49, v55, v49
	;; [unrolled: 4-line block ×5, first 2 shown]
	v_add_f32_e32 v9, v9, v13
	v_add_f32_e32 v8, v8, v12
	v_add_lshl_u32 v12, v46, v48, 3
	ds_write2_b64 v12, v[8:9], v[49:50] offset1:1
	ds_write2_b64 v12, v[51:52], v[53:54] offset0:2 offset1:3
	ds_write2_b64 v12, v[58:59], v[10:11] offset0:4 offset1:5
	;; [unrolled: 1-line block ×5, first 2 shown]
	ds_write_b64 v12, v[41:42] offset:96
.LBB0_7:
	s_or_b64 exec, exec, s[2:3]
	v_lshlrev_b32_e32 v8, 5, v45
	s_load_dwordx4 s[0:3], s[0:1], 0x0
	s_waitcnt lgkmcnt(0)
	s_barrier
	global_load_dwordx4 v[16:19], v8, s[8:9]
	global_load_dwordx4 v[12:15], v8, s[8:9] offset:16
	v_add_lshl_u32 v39, v46, v45, 3
	ds_read2_b64 v[24:27], v39 offset1:13
	ds_read2_b64 v[28:31], v39 offset0:26 offset1:39
	ds_read_b64 v[8:9], v39 offset:416
	v_lshl_add_u32 v38, v45, 3, v47
	s_waitcnt vmcnt(1) lgkmcnt(2)
	v_mul_f32_e32 v32, v27, v17
	v_mul_f32_e32 v33, v26, v17
	s_waitcnt lgkmcnt(1)
	v_mul_f32_e32 v34, v29, v19
	v_mul_f32_e32 v35, v28, v19
	s_waitcnt vmcnt(0)
	v_mul_f32_e32 v36, v31, v13
	v_mul_f32_e32 v37, v30, v13
	s_waitcnt lgkmcnt(0)
	v_mul_f32_e32 v49, v9, v15
	v_mul_f32_e32 v50, v8, v15
	v_fma_f32 v26, v26, v16, -v32
	v_fmac_f32_e32 v33, v27, v16
	v_fma_f32 v27, v28, v18, -v34
	v_fmac_f32_e32 v35, v29, v18
	;; [unrolled: 2-line block ×4, first 2 shown]
	v_add_f32_e32 v8, v24, v26
	v_add_f32_e32 v9, v27, v28
	v_sub_f32_e32 v29, v26, v27
	v_sub_f32_e32 v30, v32, v28
	v_add_f32_e32 v31, v26, v32
	v_add_f32_e32 v53, v35, v37
	;; [unrolled: 1-line block ×3, first 2 shown]
	v_sub_f32_e32 v49, v27, v26
	v_add_f32_e32 v52, v25, v33
	v_sub_f32_e32 v54, v26, v32
	v_sub_f32_e32 v55, v27, v28
	;; [unrolled: 1-line block ×4, first 2 shown]
	v_add_f32_e32 v27, v8, v27
	v_fma_f32 v8, -0.5, v9, v24
	v_add_f32_e32 v59, v29, v30
	v_fma_f32 v30, -0.5, v31, v24
	v_fma_f32 v9, -0.5, v53, v25
	;; [unrolled: 1-line block ×3, first 2 shown]
	v_sub_f32_e32 v34, v33, v50
	v_sub_f32_e32 v36, v35, v37
	;; [unrolled: 1-line block ×4, first 2 shown]
	v_add_f32_e32 v24, v52, v35
	v_add_f32_e32 v35, v26, v56
	;; [unrolled: 1-line block ×3, first 2 shown]
	v_mov_b32_e32 v26, v8
	v_mov_b32_e32 v28, v30
	v_mov_b32_e32 v27, v9
	v_mov_b32_e32 v29, v31
	v_sub_f32_e32 v58, v37, v50
	v_fmac_f32_e32 v8, 0xbf737871, v34
	v_fmac_f32_e32 v30, 0x3f737871, v36
	;; [unrolled: 1-line block ×8, first 2 shown]
	v_add_f32_e32 v49, v49, v51
	v_add_f32_e32 v33, v33, v58
	;; [unrolled: 1-line block ×3, first 2 shown]
	v_fmac_f32_e32 v8, 0xbf167918, v36
	v_fmac_f32_e32 v30, 0xbf167918, v34
	;; [unrolled: 1-line block ×8, first 2 shown]
	v_add_f32_e32 v24, v25, v32
	v_add_f32_e32 v25, v37, v50
	v_fmac_f32_e32 v8, 0x3e9e377a, v59
	v_fmac_f32_e32 v30, 0x3e9e377a, v49
	;; [unrolled: 1-line block ×8, first 2 shown]
	ds_write2_b64 v38, v[24:25], v[26:27] offset1:13
	ds_write2_b64 v38, v[28:29], v[30:31] offset0:26 offset1:39
	ds_write_b64 v38, v[8:9] offset:416
	s_waitcnt lgkmcnt(0)
	s_barrier
	s_and_saveexec_b64 s[4:5], vcc
	s_cbranch_execz .LBB0_9
; %bb.8:
	global_load_dwordx2 v[36:37], v44, s[6:7] offset:520
	s_add_u32 s8, s6, 0x208
	s_addc_u32 s9, s7, 0
	global_load_dwordx2 v[69:70], v44, s[8:9] offset:40
	global_load_dwordx2 v[71:72], v44, s[8:9] offset:80
	;; [unrolled: 1-line block ×12, first 2 shown]
	ds_read2_b64 v[32:35], v38 offset1:5
	ds_read2_b64 v[49:52], v38 offset0:10 offset1:15
	ds_read2_b64 v[53:56], v38 offset0:20 offset1:25
	;; [unrolled: 1-line block ×5, first 2 shown]
	ds_read_b64 v[93:94], v38 offset:480
	s_waitcnt vmcnt(9) lgkmcnt(5)
	v_mul_f32_e32 v97, v52, v74
	s_waitcnt vmcnt(8) lgkmcnt(4)
	v_mul_f32_e32 v98, v54, v76
	s_waitcnt vmcnt(7)
	v_mul_f32_e32 v99, v56, v78
	s_waitcnt vmcnt(6) lgkmcnt(3)
	v_mul_f32_e32 v100, v58, v80
	s_waitcnt vmcnt(5)
	v_mul_f32_e32 v101, v60, v82
	s_waitcnt vmcnt(4) lgkmcnt(2)
	v_mul_f32_e32 v102, v62, v84
	v_mul_f32_e32 v95, v33, v37
	;; [unrolled: 1-line block ×3, first 2 shown]
	v_fma_f32 v95, v32, v36, -v95
	v_fmac_f32_e32 v96, v33, v36
	v_mul_f32_e32 v32, v35, v70
	v_mul_f32_e32 v33, v34, v70
	;; [unrolled: 1-line block ×10, first 2 shown]
	s_waitcnt vmcnt(3)
	v_mul_f32_e32 v103, v64, v86
	v_mul_f32_e32 v82, v63, v86
	s_waitcnt vmcnt(2) lgkmcnt(1)
	v_mul_f32_e32 v104, v66, v88
	v_mul_f32_e32 v84, v65, v88
	s_waitcnt vmcnt(1)
	v_mul_f32_e32 v105, v68, v90
	v_mul_f32_e32 v86, v67, v90
	s_waitcnt vmcnt(0) lgkmcnt(0)
	v_mul_f32_e32 v90, v94, v92
	v_mul_f32_e32 v88, v93, v92
	v_fma_f32 v32, v34, v69, -v32
	v_fmac_f32_e32 v33, v35, v69
	v_fma_f32 v35, v49, v71, -v37
	v_fmac_f32_e32 v36, v50, v71
	;; [unrolled: 2-line block ×12, first 2 shown]
	ds_write2_b64 v38, v[95:96], v[32:33] offset1:5
	ds_write2_b64 v38, v[35:36], v[69:70] offset0:10 offset1:15
	ds_write2_b64 v38, v[71:72], v[73:74] offset0:20 offset1:25
	;; [unrolled: 1-line block ×5, first 2 shown]
	ds_write_b64 v38, v[87:88] offset:480
.LBB0_9:
	s_or_b64 exec, exec, s[4:5]
	s_waitcnt lgkmcnt(0)
	s_barrier
	s_and_saveexec_b64 s[4:5], vcc
	s_cbranch_execz .LBB0_11
; %bb.10:
	ds_read2_b64 v[24:27], v38 offset1:5
	ds_read2_b64 v[28:31], v38 offset0:10 offset1:15
	ds_read2_b64 v[8:11], v38 offset0:20 offset1:25
	;; [unrolled: 1-line block ×5, first 2 shown]
	ds_read_b64 v[41:42], v38 offset:480
.LBB0_11:
	s_or_b64 exec, exec, s[4:5]
	s_waitcnt lgkmcnt(0)
	s_barrier
	s_and_saveexec_b64 s[4:5], vcc
	s_cbranch_execz .LBB0_13
; %bb.12:
	v_add_f32_e32 v63, v42, v27
	v_mul_f32_e32 v64, 0xbf788fa5, v63
	v_add_f32_e32 v65, v3, v29
	v_sub_f32_e32 v49, v26, v41
	v_mov_b32_e32 v32, v64
	v_mul_f32_e32 v66, 0x3f62ad3f, v65
	v_fmac_f32_e32 v32, 0x3e750f2a, v49
	v_sub_f32_e32 v50, v28, v2
	v_mov_b32_e32 v33, v66
	v_add_f32_e32 v67, v1, v31
	v_add_f32_e32 v32, v25, v32
	v_fmac_f32_e32 v33, 0xbeedf032, v50
	v_mul_f32_e32 v68, 0xbf3f9e67, v67
	v_add_f32_e32 v32, v33, v32
	v_sub_f32_e32 v51, v30, v0
	v_mov_b32_e32 v33, v68
	v_add_f32_e32 v69, v7, v9
	v_fmac_f32_e32 v33, 0x3f29c268, v51
	v_mul_f32_e32 v70, 0x3f116cb1, v69
	v_add_f32_e32 v32, v33, v32
	v_sub_f32_e32 v52, v8, v6
	v_mov_b32_e32 v33, v70
	;; [unrolled: 6-line block ×4, first 2 shown]
	v_sub_f32_e32 v75, v27, v42
	v_fmac_f32_e32 v33, 0xbf7e222b, v54
	v_mul_f32_e32 v76, 0xbe750f2a, v75
	v_sub_f32_e32 v77, v29, v3
	v_add_f32_e32 v33, v33, v32
	v_add_f32_e32 v55, v41, v26
	v_mov_b32_e32 v32, v76
	v_mul_f32_e32 v78, 0x3eedf032, v77
	v_fmac_f32_e32 v32, 0xbf788fa5, v55
	v_add_f32_e32 v56, v2, v28
	v_mov_b32_e32 v34, v78
	v_sub_f32_e32 v79, v31, v1
	v_add_f32_e32 v32, v24, v32
	v_fmac_f32_e32 v34, 0x3f62ad3f, v56
	v_mul_f32_e32 v80, 0xbf29c268, v79
	v_add_f32_e32 v32, v34, v32
	v_add_f32_e32 v57, v0, v30
	v_mov_b32_e32 v34, v80
	v_sub_f32_e32 v81, v9, v7
	v_fmac_f32_e32 v34, 0xbf3f9e67, v57
	v_mul_f32_e32 v82, 0x3f52af12, v81
	v_add_f32_e32 v32, v34, v32
	v_add_f32_e32 v58, v6, v8
	v_mov_b32_e32 v34, v82
	v_sub_f32_e32 v83, v11, v5
	;; [unrolled: 6-line block ×3, first 2 shown]
	v_fmac_f32_e32 v34, 0xbeb58ec6, v59
	v_mul_f32_e32 v86, 0x3f7e222b, v85
	v_add_f32_e32 v32, v34, v32
	v_add_f32_e32 v60, v22, v20
	v_mov_b32_e32 v34, v86
	v_fmac_f32_e32 v34, 0x3df6dbef, v60
	v_mul_f32_e32 v87, 0xbf3f9e67, v63
	v_add_f32_e32 v32, v34, v32
	v_mov_b32_e32 v34, v87
	v_mul_f32_e32 v88, 0x3df6dbef, v65
	v_fmac_f32_e32 v34, 0x3f29c268, v49
	v_mov_b32_e32 v35, v88
	v_add_f32_e32 v34, v25, v34
	v_fmac_f32_e32 v35, 0xbf7e222b, v50
	v_mul_f32_e32 v89, 0x3f116cb1, v67
	v_add_f32_e32 v34, v35, v34
	v_mov_b32_e32 v35, v89
	v_fmac_f32_e32 v35, 0x3f52af12, v51
	v_mul_f32_e32 v90, 0xbf788fa5, v69
	v_add_f32_e32 v34, v35, v34
	v_mov_b32_e32 v35, v90
	v_fmac_f32_e32 v35, 0xbe750f2a, v52
	v_mul_f32_e32 v91, 0x3f62ad3f, v71
	v_add_f32_e32 v34, v35, v34
	v_mov_b32_e32 v35, v91
	v_fmac_f32_e32 v35, 0xbeedf032, v53
	v_mul_f32_e32 v92, 0xbeb58ec6, v73
	v_add_f32_e32 v34, v35, v34
	v_mov_b32_e32 v35, v92
	v_fmac_f32_e32 v35, 0x3f6f5d39, v54
	v_mul_f32_e32 v93, 0xbf29c268, v75
	v_add_f32_e32 v35, v35, v34
	v_mov_b32_e32 v34, v93
	v_mul_f32_e32 v94, 0x3f7e222b, v77
	v_fmac_f32_e32 v34, 0xbf3f9e67, v55
	v_mov_b32_e32 v36, v94
	v_add_f32_e32 v34, v24, v34
	v_fmac_f32_e32 v36, 0x3df6dbef, v56
	v_mul_f32_e32 v95, 0xbf52af12, v79
	v_add_f32_e32 v34, v36, v34
	v_mov_b32_e32 v36, v95
	v_fmac_f32_e32 v36, 0x3f116cb1, v57
	v_mul_f32_e32 v96, 0x3e750f2a, v81
	v_add_f32_e32 v34, v36, v34
	v_mov_b32_e32 v36, v96
	v_fmac_f32_e32 v36, 0xbf788fa5, v58
	v_mul_f32_e32 v97, 0x3eedf032, v83
	v_add_f32_e32 v34, v36, v34
	v_mov_b32_e32 v36, v97
	v_fmac_f32_e32 v36, 0x3f62ad3f, v59
	v_mul_f32_e32 v98, 0xbf6f5d39, v85
	;; [unrolled: 24-line block ×5, first 2 shown]
	v_add_f32_e32 v61, v62, v61
	v_mov_b32_e32 v62, v116
	v_fmac_f32_e32 v62, 0x3f29c268, v54
	v_mul_f32_e32 v117, 0xbf7e222b, v75
	v_add_f32_e32 v62, v62, v61
	v_mov_b32_e32 v61, v117
	v_mul_f32_e32 v118, 0xbe750f2a, v77
	v_fmac_f32_e32 v61, 0x3df6dbef, v55
	v_mov_b32_e32 v119, v118
	v_add_f32_e32 v61, v24, v61
	v_fmac_f32_e32 v119, 0xbf788fa5, v56
	v_add_f32_e32 v61, v119, v61
	v_mul_f32_e32 v119, 0x3f6f5d39, v79
	v_mov_b32_e32 v120, v119
	v_fmac_f32_e32 v120, 0xbeb58ec6, v57
	v_add_f32_e32 v61, v120, v61
	v_mul_f32_e32 v120, 0x3eedf032, v81
	v_mov_b32_e32 v121, v120
	;; [unrolled: 4-line block ×5, first 2 shown]
	v_mul_f32_e32 v125, 0xbeb58ec6, v65
	v_fmac_f32_e32 v124, 0x3f52af12, v49
	v_mov_b32_e32 v126, v125
	v_add_f32_e32 v124, v25, v124
	v_fmac_f32_e32 v126, 0x3f6f5d39, v50
	v_add_f32_e32 v124, v126, v124
	v_mul_f32_e32 v126, 0xbf788fa5, v67
	v_mov_b32_e32 v127, v126
	v_fmac_f32_e32 v127, 0x3e750f2a, v51
	v_add_f32_e32 v124, v127, v124
	v_mul_f32_e32 v127, 0xbf3f9e67, v69
	v_mov_b32_e32 v128, v127
	v_add_f32_e32 v27, v27, v25
	v_add_f32_e32 v26, v26, v24
	v_fmac_f32_e32 v128, 0xbf29c268, v52
	v_add_f32_e32 v27, v29, v27
	v_add_f32_e32 v26, v28, v26
	v_mul_f32_e32 v28, 0xbf52af12, v75
	v_add_f32_e32 v124, v128, v124
	v_mul_f32_e32 v128, 0x3df6dbef, v71
	v_add_f32_e32 v29, v31, v27
	v_add_f32_e32 v26, v30, v26
	v_mov_b32_e32 v27, v28
	v_mul_f32_e32 v30, 0xbf6f5d39, v77
	v_mov_b32_e32 v129, v128
	v_fmac_f32_e32 v27, 0x3f116cb1, v55
	v_mov_b32_e32 v31, v30
	v_add_f32_e32 v9, v9, v29
	v_add_f32_e32 v8, v8, v26
	v_mul_f32_e32 v29, 0xbe750f2a, v79
	v_fmac_f32_e32 v129, 0xbf7e222b, v53
	v_add_f32_e32 v27, v24, v27
	v_fmac_f32_e32 v31, 0xbeb58ec6, v56
	v_add_f32_e32 v8, v10, v8
	v_mov_b32_e32 v10, v29
	v_add_f32_e32 v124, v129, v124
	v_mul_f32_e32 v129, 0x3f62ad3f, v73
	v_add_f32_e32 v31, v31, v27
	v_fmac_f32_e32 v10, 0xbf788fa5, v57
	v_mov_b32_e32 v27, v129
	v_add_f32_e32 v10, v10, v31
	v_mul_f32_e32 v31, 0x3f29c268, v81
	v_fmac_f32_e32 v27, 0xbeedf032, v54
	v_add_f32_e32 v9, v11, v9
	v_mov_b32_e32 v11, v31
	v_add_f32_e32 v27, v27, v124
	v_fmac_f32_e32 v11, 0xbf3f9e67, v58
	v_mul_f32_e32 v124, 0x3f7e222b, v83
	v_add_f32_e32 v10, v11, v10
	v_mov_b32_e32 v11, v124
	v_fmac_f32_e32 v11, 0x3df6dbef, v59
	v_mul_f32_e32 v130, 0x3eedf032, v85
	v_add_f32_e32 v10, v11, v10
	v_mov_b32_e32 v11, v130
	;; [unrolled: 4-line block ×3, first 2 shown]
	v_mul_f32_e32 v65, 0x3f116cb1, v65
	v_fmac_f32_e32 v10, 0x3eedf032, v49
	v_mov_b32_e32 v11, v65
	v_add_f32_e32 v10, v25, v10
	v_fmac_f32_e32 v11, 0x3f52af12, v50
	v_mul_f32_e32 v67, 0x3df6dbef, v67
	v_add_f32_e32 v10, v11, v10
	v_mov_b32_e32 v11, v67
	v_fmac_f32_e32 v11, 0x3f7e222b, v51
	v_mul_f32_e32 v69, 0xbeb58ec6, v69
	v_add_f32_e32 v10, v11, v10
	v_mov_b32_e32 v11, v69
	;; [unrolled: 4-line block ×3, first 2 shown]
	v_fmac_f32_e32 v11, 0x3f29c268, v53
	v_add_f32_e32 v9, v21, v9
	v_add_f32_e32 v10, v11, v10
	;; [unrolled: 1-line block ×12, first 2 shown]
	v_fmac_f32_e32 v64, 0xbe750f2a, v49
	v_add_f32_e32 v0, v2, v0
	v_add_f32_e32 v2, v25, v64
	v_fmac_f32_e32 v66, 0x3eedf032, v50
	v_add_f32_e32 v2, v66, v2
	v_fmac_f32_e32 v68, 0xbf29c268, v51
	v_add_f32_e32 v2, v68, v2
	v_fmac_f32_e32 v70, 0x3f52af12, v52
	v_add_f32_e32 v2, v70, v2
	v_fmac_f32_e32 v72, 0xbf6f5d39, v53
	s_mov_b32 s8, 0xbf788fa5
	v_add_f32_e32 v2, v72, v2
	v_fmac_f32_e32 v74, 0x3f7e222b, v54
	s_mov_b32 s11, 0x3f62ad3f
	v_add_f32_e32 v3, v74, v2
	v_fma_f32 v2, v55, s8, -v76
	s_mov_b32 s9, 0xbf3f9e67
	v_add_f32_e32 v2, v24, v2
	v_fma_f32 v4, v56, s11, -v78
	;; [unrolled: 3-line block ×5, first 2 shown]
	v_add_f32_e32 v2, v4, v2
	v_fma_f32 v4, v60, s15, -v86
	v_fmac_f32_e32 v87, 0xbf29c268, v49
	v_add_f32_e32 v2, v4, v2
	v_add_f32_e32 v4, v25, v87
	v_fmac_f32_e32 v88, 0x3f7e222b, v50
	v_add_f32_e32 v4, v88, v4
	v_fmac_f32_e32 v89, 0xbf52af12, v51
	;; [unrolled: 2-line block ×3, first 2 shown]
	v_mul_f32_e32 v73, 0xbf788fa5, v73
	v_add_f32_e32 v4, v90, v4
	v_fmac_f32_e32 v91, 0x3eedf032, v53
	v_mov_b32_e32 v8, v73
	v_add_f32_e32 v4, v91, v4
	v_fmac_f32_e32 v92, 0xbf6f5d39, v54
	v_fmac_f32_e32 v8, 0x3e750f2a, v54
	v_mul_f32_e32 v22, 0xbeedf032, v75
	v_add_f32_e32 v5, v92, v4
	v_fma_f32 v4, v55, s9, -v93
	v_add_f32_e32 v9, v8, v10
	v_mov_b32_e32 v8, v22
	v_mul_f32_e32 v75, 0xbf52af12, v77
	v_add_f32_e32 v4, v24, v4
	v_fma_f32 v6, v56, s15, -v94
	v_fmac_f32_e32 v8, 0x3f62ad3f, v55
	v_mov_b32_e32 v10, v75
	v_add_f32_e32 v4, v6, v4
	v_fma_f32 v6, v57, s14, -v95
	v_add_f32_e32 v8, v24, v8
	v_fmac_f32_e32 v10, 0x3f116cb1, v56
	v_mul_f32_e32 v77, 0xbf7e222b, v79
	v_add_f32_e32 v4, v6, v4
	v_fma_f32 v6, v58, s8, -v96
	v_add_f32_e32 v8, v10, v8
	v_mov_b32_e32 v10, v77
	v_add_f32_e32 v4, v6, v4
	v_fma_f32 v6, v59, s11, -v97
	v_fmac_f32_e32 v10, 0x3df6dbef, v57
	v_mul_f32_e32 v79, 0xbf6f5d39, v81
	v_add_f32_e32 v4, v6, v4
	v_fma_f32 v6, v60, s10, -v98
	v_fmac_f32_e32 v99, 0xbf6f5d39, v49
	v_add_f32_e32 v8, v10, v8
	v_mov_b32_e32 v10, v79
	v_add_f32_e32 v4, v6, v4
	v_add_f32_e32 v6, v25, v99
	v_fmac_f32_e32 v100, 0x3f29c268, v50
	v_fmac_f32_e32 v10, 0xbeb58ec6, v58
	v_mul_f32_e32 v81, 0xbf29c268, v83
	v_add_f32_e32 v6, v100, v6
	v_fmac_f32_e32 v101, 0x3eedf032, v51
	v_add_f32_e32 v8, v10, v8
	v_mov_b32_e32 v10, v81
	v_add_f32_e32 v6, v101, v6
	v_fmac_f32_e32 v102, 0xbf7e222b, v52
	v_fmac_f32_e32 v10, 0xbf3f9e67, v59
	v_mul_f32_e32 v83, 0xbe750f2a, v85
	v_add_f32_e32 v6, v102, v6
	v_fmac_f32_e32 v103, 0x3e750f2a, v53
	v_add_f32_e32 v8, v10, v8
	v_mov_b32_e32 v10, v83
	v_add_f32_e32 v6, v103, v6
	v_fmac_f32_e32 v104, 0x3f52af12, v54
	v_fmac_f32_e32 v10, 0xbf788fa5, v60
	v_add_f32_e32 v7, v104, v6
	v_fma_f32 v6, v55, s10, -v105
	v_add_f32_e32 v8, v10, v8
	v_add_f32_e32 v6, v24, v6
	v_fma_f32 v10, v56, s9, -v106
	v_add_f32_e32 v6, v10, v6
	v_fma_f32 v10, v57, s11, -v107
	;; [unrolled: 2-line block ×5, first 2 shown]
	v_fmac_f32_e32 v111, 0xbf7e222b, v49
	v_add_f32_e32 v6, v10, v6
	v_add_f32_e32 v10, v25, v111
	v_fmac_f32_e32 v112, 0xbe750f2a, v50
	v_add_f32_e32 v10, v112, v10
	v_fmac_f32_e32 v113, 0x3f6f5d39, v51
	;; [unrolled: 2-line block ×5, first 2 shown]
	v_add_f32_e32 v11, v116, v10
	v_fma_f32 v10, v55, s15, -v117
	v_add_f32_e32 v10, v24, v10
	v_fma_f32 v20, v56, s8, -v118
	;; [unrolled: 2-line block ×6, first 2 shown]
	v_fmac_f32_e32 v123, 0xbf52af12, v49
	v_add_f32_e32 v10, v20, v10
	v_add_f32_e32 v20, v25, v123
	v_fmac_f32_e32 v125, 0xbf6f5d39, v50
	v_add_f32_e32 v20, v125, v20
	v_fmac_f32_e32 v126, 0xbe750f2a, v51
	;; [unrolled: 2-line block ×5, first 2 shown]
	v_add_f32_e32 v21, v129, v20
	v_fma_f32 v20, v55, s14, -v28
	v_add_f32_e32 v20, v24, v20
	v_fma_f32 v23, v56, s10, -v30
	;; [unrolled: 2-line block ×5, first 2 shown]
	v_fma_f32 v22, v55, s11, -v22
	v_add_f32_e32 v20, v23, v20
	v_fma_f32 v23, v60, s11, -v130
	v_fmac_f32_e32 v63, 0xbeedf032, v49
	v_add_f32_e32 v22, v24, v22
	v_fma_f32 v24, v56, s14, -v75
	v_add_f32_e32 v20, v23, v20
	v_add_f32_e32 v23, v25, v63
	v_fmac_f32_e32 v65, 0xbf52af12, v50
	v_add_f32_e32 v22, v24, v22
	v_fma_f32 v24, v57, s15, -v77
	v_add_f32_e32 v23, v65, v23
	v_fmac_f32_e32 v67, 0xbf7e222b, v51
	v_add_f32_e32 v22, v24, v22
	v_fma_f32 v24, v58, s10, -v79
	;; [unrolled: 4-line block ×4, first 2 shown]
	v_add_f32_e32 v1, v42, v1
	v_add_f32_e32 v0, v41, v0
	;; [unrolled: 1-line block ×3, first 2 shown]
	v_fmac_f32_e32 v73, 0xbe750f2a, v54
	v_add_f32_e32 v22, v24, v22
	v_lshl_add_u32 v24, v48, 3, v47
	v_add_f32_e32 v23, v73, v23
	ds_write2_b64 v24, v[0:1], v[8:9] offset1:1
	ds_write2_b64 v24, v[26:27], v[61:62] offset0:2 offset1:3
	ds_write2_b64 v24, v[36:37], v[34:35] offset0:4 offset1:5
	;; [unrolled: 1-line block ×5, first 2 shown]
	ds_write_b64 v24, v[22:23] offset:96
.LBB0_13:
	s_or_b64 exec, exec, s[4:5]
	s_waitcnt lgkmcnt(0)
	s_barrier
	ds_read2_b64 v[0:3], v39 offset1:13
	ds_read2_b64 v[4:7], v39 offset0:26 offset1:39
	ds_read_b64 v[8:9], v39 offset:416
	s_waitcnt lgkmcnt(2)
	v_mul_f32_e32 v10, v17, v3
	v_fmac_f32_e32 v10, v16, v2
	v_mul_f32_e32 v2, v17, v2
	v_fma_f32 v11, v16, v3, -v2
	s_waitcnt lgkmcnt(1)
	v_mul_f32_e32 v16, v19, v5
	v_mul_f32_e32 v2, v19, v4
	v_fmac_f32_e32 v16, v18, v4
	v_fma_f32 v17, v18, v5, -v2
	v_mul_f32_e32 v18, v13, v7
	v_fmac_f32_e32 v18, v12, v6
	v_mul_f32_e32 v2, v13, v6
	v_fma_f32 v12, v12, v7, -v2
	s_waitcnt lgkmcnt(0)
	v_mul_f32_e32 v2, v15, v8
	v_add_f32_e32 v3, v16, v18
	v_mul_f32_e32 v7, v15, v9
	v_fma_f32 v13, v14, v9, -v2
	v_fma_f32 v4, -0.5, v3, v0
	v_fmac_f32_e32 v7, v14, v8
	v_sub_f32_e32 v3, v11, v13
	v_mov_b32_e32 v6, v4
	v_fmac_f32_e32 v6, 0xbf737871, v3
	v_sub_f32_e32 v5, v17, v12
	v_sub_f32_e32 v8, v10, v16
	;; [unrolled: 1-line block ×3, first 2 shown]
	v_fmac_f32_e32 v4, 0x3f737871, v3
	v_fmac_f32_e32 v6, 0xbf167918, v5
	v_add_f32_e32 v8, v8, v9
	v_fmac_f32_e32 v4, 0x3f167918, v5
	v_fmac_f32_e32 v6, 0x3e9e377a, v8
	;; [unrolled: 1-line block ×3, first 2 shown]
	v_add_f32_e32 v8, v10, v7
	v_add_f32_e32 v2, v0, v10
	v_fma_f32 v0, -0.5, v8, v0
	v_mov_b32_e32 v8, v0
	v_add_f32_e32 v2, v2, v16
	v_fmac_f32_e32 v8, 0x3f737871, v5
	v_fmac_f32_e32 v0, 0xbf737871, v5
	v_add_f32_e32 v5, v17, v12
	v_add_f32_e32 v2, v2, v18
	v_sub_f32_e32 v9, v16, v10
	v_sub_f32_e32 v14, v18, v7
	v_fma_f32 v5, -0.5, v5, v1
	v_add_f32_e32 v2, v2, v7
	v_fmac_f32_e32 v8, 0xbf167918, v3
	v_add_f32_e32 v9, v9, v14
	v_fmac_f32_e32 v0, 0x3f167918, v3
	v_sub_f32_e32 v10, v10, v7
	v_mov_b32_e32 v7, v5
	v_fmac_f32_e32 v8, 0x3e9e377a, v9
	v_fmac_f32_e32 v0, 0x3e9e377a, v9
	;; [unrolled: 1-line block ×3, first 2 shown]
	v_sub_f32_e32 v14, v16, v18
	v_sub_f32_e32 v9, v11, v17
	;; [unrolled: 1-line block ×3, first 2 shown]
	v_fmac_f32_e32 v5, 0xbf737871, v10
	v_fmac_f32_e32 v7, 0x3f167918, v14
	v_add_f32_e32 v9, v9, v15
	v_fmac_f32_e32 v5, 0xbf167918, v14
	v_fmac_f32_e32 v7, 0x3e9e377a, v9
	;; [unrolled: 1-line block ×3, first 2 shown]
	v_add_f32_e32 v9, v11, v13
	v_add_f32_e32 v3, v1, v11
	v_fma_f32 v1, -0.5, v9, v1
	v_add_f32_e32 v3, v3, v17
	v_mov_b32_e32 v9, v1
	v_add_f32_e32 v3, v3, v12
	v_fmac_f32_e32 v9, 0xbf737871, v14
	v_sub_f32_e32 v11, v17, v11
	v_sub_f32_e32 v12, v12, v13
	v_fmac_f32_e32 v1, 0x3f737871, v14
	v_add_f32_e32 v3, v3, v13
	v_fmac_f32_e32 v9, 0x3f167918, v10
	v_add_f32_e32 v11, v11, v12
	v_fmac_f32_e32 v1, 0xbf167918, v10
	v_fmac_f32_e32 v9, 0x3e9e377a, v11
	;; [unrolled: 1-line block ×3, first 2 shown]
	ds_write2_b64 v38, v[2:3], v[6:7] offset1:13
	ds_write2_b64 v38, v[8:9], v[0:1] offset0:26 offset1:39
	ds_write_b64 v38, v[4:5] offset:416
	s_waitcnt lgkmcnt(0)
	s_barrier
	s_and_b64 exec, exec, vcc
	s_cbranch_execz .LBB0_15
; %bb.14:
	global_load_dwordx2 v[8:9], v44, s[6:7]
	global_load_dwordx2 v[10:11], v44, s[6:7] offset:40
	global_load_dwordx2 v[12:13], v44, s[6:7] offset:80
	global_load_dwordx2 v[14:15], v44, s[6:7] offset:120
	global_load_dwordx2 v[16:17], v44, s[6:7] offset:160
	ds_read_b64 v[20:21], v38
	global_load_dwordx2 v[24:25], v44, s[6:7] offset:200
	global_load_dwordx2 v[26:27], v44, s[6:7] offset:240
	;; [unrolled: 1-line block ×4, first 2 shown]
	v_mad_u64_u32 v[18:19], s[4:5], s2, v40, 0
	v_mad_u64_u32 v[22:23], s[8:9], s0, v45, 0
	s_waitcnt lgkmcnt(0)
	v_mad_u64_u32 v[32:33], s[10:11], s3, v40, v[19:20]
	v_mov_b32_e32 v35, s13
	v_lshl_add_u32 v36, v46, 3, v44
	v_mov_b32_e32 v19, v32
	v_lshlrev_b64 v[18:19], 3, v[18:19]
	s_mul_i32 s8, s1, 40
	v_add_co_u32_e32 v38, vcc, s12, v18
	v_addc_co_u32_e32 v35, vcc, v35, v19, vcc
	s_mul_hi_u32 s9, s0, 40
	ds_read2_b64 v[0:3], v36 offset0:5 offset1:10
	s_mul_i32 s2, s0, 40
	s_add_i32 s8, s9, s8
	ds_read2_b64 v[4:7], v36 offset0:15 offset1:20
	v_mov_b32_e32 v37, s8
	s_mov_b32 s4, 0x1f81f820
	s_mov_b32 s5, 0x3f8f81f8
	s_waitcnt vmcnt(6) lgkmcnt(1)
	v_mul_f32_e32 v39, v3, v13
	s_waitcnt vmcnt(3)
	v_mad_u64_u32 v[33:34], s[10:11], s1, v45, v[23:24]
	v_mov_b32_e32 v34, s8
	v_mul_f32_e32 v13, v2, v13
	v_mov_b32_e32 v23, v33
	v_lshlrev_b64 v[22:23], 3, v[22:23]
	s_waitcnt lgkmcnt(0)
	v_mul_f32_e32 v40, v5, v15
	v_add_co_u32_e32 v18, vcc, v38, v22
	v_addc_co_u32_e32 v19, vcc, v35, v23, vcc
	v_add_co_u32_e32 v22, vcc, s2, v18
	v_addc_co_u32_e32 v23, vcc, v19, v34, vcc
	v_add_co_u32_e32 v32, vcc, s2, v22
	v_mul_f32_e32 v34, v21, v9
	v_mul_f32_e32 v9, v20, v9
	v_addc_co_u32_e32 v33, vcc, v23, v37, vcc
	v_mul_f32_e32 v37, v1, v11
	v_mul_f32_e32 v11, v0, v11
	v_fmac_f32_e32 v34, v20, v8
	v_fma_f32 v8, v8, v21, -v9
	v_mul_f32_e32 v15, v4, v15
	v_mul_f32_e32 v41, v7, v17
	;; [unrolled: 1-line block ×3, first 2 shown]
	v_fmac_f32_e32 v37, v0, v10
	v_fma_f32 v9, v10, v1, -v11
	v_fmac_f32_e32 v39, v2, v12
	v_fma_f32 v10, v12, v3, -v13
	v_cvt_f64_f32_e32 v[0:1], v34
	v_cvt_f64_f32_e32 v[2:3], v8
	v_fmac_f32_e32 v40, v4, v14
	v_fma_f32 v14, v14, v5, -v15
	v_fmac_f32_e32 v41, v6, v16
	v_fma_f32 v20, v16, v7, -v17
	v_cvt_f64_f32_e32 v[4:5], v37
	v_cvt_f64_f32_e32 v[6:7], v9
	;; [unrolled: 1-line block ×4, first 2 shown]
	v_mul_f64 v[0:1], v[0:1], s[4:5]
	v_mul_f64 v[2:3], v[2:3], s[4:5]
	;; [unrolled: 1-line block ×6, first 2 shown]
	v_cvt_f64_f32_e32 v[12:13], v40
	v_cvt_f64_f32_e32 v[14:15], v14
	v_cvt_f32_f64_e32 v0, v[0:1]
	v_cvt_f32_f64_e32 v1, v[2:3]
	v_mul_f64 v[12:13], v[12:13], s[4:5]
	v_mul_f64 v[14:15], v[14:15], s[4:5]
	v_cvt_f32_f64_e32 v2, v[4:5]
	v_cvt_f32_f64_e32 v3, v[6:7]
	;; [unrolled: 1-line block ×4, first 2 shown]
	global_store_dwordx2 v[18:19], v[0:1], off
	global_store_dwordx2 v[22:23], v[2:3], off
	;; [unrolled: 1-line block ×3, first 2 shown]
	v_cvt_f64_f32_e32 v[0:1], v20
	v_cvt_f64_f32_e32 v[16:17], v41
	v_cvt_f32_f64_e32 v6, v[12:13]
	v_cvt_f32_f64_e32 v7, v[14:15]
	v_mul_f64 v[8:9], v[0:1], s[4:5]
	ds_read2_b64 v[0:3], v36 offset0:25 offset1:30
	v_mul_f64 v[4:5], v[16:17], s[4:5]
	v_mov_b32_e32 v11, s8
	v_add_co_u32_e32 v10, vcc, s2, v32
	global_load_dwordx2 v[12:13], v44, s[6:7] offset:360
	v_addc_co_u32_e32 v11, vcc, v33, v11, vcc
	global_store_dwordx2 v[10:11], v[6:7], off
	s_waitcnt lgkmcnt(0)
	v_mul_f32_e32 v6, v1, v25
	v_fmac_f32_e32 v6, v0, v24
	v_cvt_f64_f32_e32 v[6:7], v6
	v_cvt_f32_f64_e32 v4, v[4:5]
	v_cvt_f32_f64_e32 v5, v[8:9]
	global_load_dwordx2 v[8:9], v44, s[6:7] offset:400
	global_load_dwordx2 v[16:17], v44, s[6:7] offset:440
	v_mul_f64 v[6:7], v[6:7], s[4:5]
	v_mov_b32_e32 v14, s8
	v_add_co_u32_e32 v10, vcc, s2, v10
	v_addc_co_u32_e32 v11, vcc, v11, v14, vcc
	global_store_dwordx2 v[10:11], v[4:5], off
	s_waitcnt vmcnt(10)
	v_mul_f32_e32 v5, v3, v27
	v_fmac_f32_e32 v5, v2, v26
	v_mul_f32_e32 v2, v2, v27
	v_fma_f32 v2, v26, v3, -v2
	v_cvt_f32_f64_e32 v4, v[6:7]
	v_cvt_f64_f32_e32 v[6:7], v5
	v_cvt_f64_f32_e32 v[2:3], v2
	v_mul_f32_e32 v0, v0, v25
	v_fma_f32 v0, v24, v1, -v0
	v_mul_f64 v[6:7], v[6:7], s[4:5]
	v_mul_f64 v[14:15], v[2:3], s[4:5]
	v_cvt_f64_f32_e32 v[0:1], v0
	v_mov_b32_e32 v18, s8
	v_add_co_u32_e32 v10, vcc, s2, v10
	v_mul_f64 v[0:1], v[0:1], s[4:5]
	v_addc_co_u32_e32 v11, vcc, v11, v18, vcc
	v_cvt_f32_f64_e32 v6, v[6:7]
	v_cvt_f32_f64_e32 v7, v[14:15]
	global_load_dwordx2 v[14:15], v44, s[6:7] offset:480
	v_mad_u64_u32 v[20:21], s[6:7], s0, v43, 0
	v_cvt_f32_f64_e32 v5, v[0:1]
	ds_read2_b64 v[0:3], v36 offset0:35 offset1:40
	global_store_dwordx2 v[10:11], v[4:5], off
	v_add_co_u32_e32 v10, vcc, s2, v10
	s_waitcnt vmcnt(11) lgkmcnt(0)
	v_mul_f32_e32 v4, v1, v29
	v_fmac_f32_e32 v4, v0, v28
	v_cvt_f64_f32_e32 v[4:5], v4
	v_mul_f32_e32 v0, v0, v29
	v_fma_f32 v0, v28, v1, -v0
	v_cvt_f64_f32_e32 v[0:1], v0
	v_mul_f64 v[4:5], v[4:5], s[4:5]
	v_addc_co_u32_e32 v11, vcc, v11, v18, vcc
	v_mul_f64 v[0:1], v[0:1], s[4:5]
	global_store_dwordx2 v[10:11], v[6:7], off
	v_add_co_u32_e32 v10, vcc, s2, v10
	v_cvt_f32_f64_e32 v4, v[4:5]
	s_waitcnt vmcnt(11)
	v_mul_f32_e32 v5, v3, v31
	v_fmac_f32_e32 v5, v2, v30
	v_mul_f32_e32 v2, v2, v31
	v_fma_f32 v2, v30, v3, -v2
	v_cvt_f64_f32_e32 v[6:7], v5
	v_cvt_f64_f32_e32 v[2:3], v2
	v_cvt_f32_f64_e32 v5, v[0:1]
	v_mov_b32_e32 v0, s8
	v_mul_f64 v[6:7], v[6:7], s[4:5]
	v_mul_f64 v[18:19], v[2:3], s[4:5]
	v_addc_co_u32_e32 v11, vcc, v11, v0, vcc
	v_mov_b32_e32 v0, v21
	global_store_dwordx2 v[10:11], v[4:5], off
	v_mad_u64_u32 v[4:5], s[6:7], s1, v43, v[0:1]
	ds_read2_b64 v[0:3], v36 offset0:45 offset1:50
	v_cvt_f32_f64_e32 v5, v[6:7]
	v_mov_b32_e32 v21, v4
	v_cvt_f32_f64_e32 v6, v[18:19]
	v_lshlrev_b64 v[18:19], 3, v[20:21]
	s_waitcnt vmcnt(8) lgkmcnt(0)
	v_mul_f32_e32 v4, v1, v13
	v_fmac_f32_e32 v4, v0, v12
	v_mul_f32_e32 v0, v0, v13
	v_fma_f32 v0, v12, v1, -v0
	v_cvt_f64_f32_e32 v[20:21], v4
	v_cvt_f64_f32_e32 v[0:1], v0
	v_add_co_u32_e32 v12, vcc, v38, v18
	v_addc_co_u32_e32 v13, vcc, v35, v19, vcc
	global_store_dwordx2 v[12:13], v[5:6], off
	s_waitcnt vmcnt(7)
	v_mul_f32_e32 v6, v3, v9
	v_mul_f64 v[4:5], v[20:21], s[4:5]
	v_mul_f64 v[0:1], v[0:1], s[4:5]
	v_fmac_f32_e32 v6, v2, v8
	v_cvt_f64_f32_e32 v[6:7], v6
	v_mul_f32_e32 v2, v2, v9
	v_fma_f32 v2, v8, v3, -v2
	v_cvt_f64_f32_e32 v[2:3], v2
	v_mul_f64 v[6:7], v[6:7], s[4:5]
	v_mov_b32_e32 v12, 0x50
	v_mad_u64_u32 v[8:9], s[6:7], s0, v12, v[10:11]
	v_mul_f64 v[10:11], v[2:3], s[4:5]
	v_cvt_f32_f64_e32 v4, v[4:5]
	v_cvt_f32_f64_e32 v5, v[0:1]
	ds_read2_b64 v[0:3], v36 offset0:55 offset1:60
	s_mul_i32 s0, s1, 0x50
	v_add_u32_e32 v9, s0, v9
	global_store_dwordx2 v[8:9], v[4:5], off
	v_cvt_f32_f64_e32 v4, v[6:7]
	s_waitcnt vmcnt(7) lgkmcnt(0)
	v_mul_f32_e32 v6, v1, v17
	v_fmac_f32_e32 v6, v0, v16
	v_mul_f32_e32 v0, v0, v17
	v_fma_f32 v0, v16, v1, -v0
	v_cvt_f32_f64_e32 v5, v[10:11]
	v_cvt_f64_f32_e32 v[6:7], v6
	v_cvt_f64_f32_e32 v[0:1], v0
	v_mov_b32_e32 v10, s8
	v_add_co_u32_e32 v8, vcc, s2, v8
	v_addc_co_u32_e32 v9, vcc, v9, v10, vcc
	global_store_dwordx2 v[8:9], v[4:5], off
	v_mul_f64 v[4:5], v[6:7], s[4:5]
	v_mul_f64 v[0:1], v[0:1], s[4:5]
	s_waitcnt vmcnt(6)
	v_mul_f32_e32 v6, v3, v15
	v_fmac_f32_e32 v6, v2, v14
	v_mul_f32_e32 v2, v2, v15
	v_fma_f32 v2, v14, v3, -v2
	v_cvt_f64_f32_e32 v[6:7], v6
	v_cvt_f64_f32_e32 v[2:3], v2
	v_cvt_f32_f64_e32 v4, v[4:5]
	v_cvt_f32_f64_e32 v5, v[0:1]
	v_mul_f64 v[0:1], v[6:7], s[4:5]
	v_mul_f64 v[2:3], v[2:3], s[4:5]
	v_mov_b32_e32 v7, s8
	v_add_co_u32_e32 v6, vcc, s2, v8
	v_addc_co_u32_e32 v7, vcc, v9, v7, vcc
	global_store_dwordx2 v[6:7], v[4:5], off
	v_cvt_f32_f64_e32 v0, v[0:1]
	v_cvt_f32_f64_e32 v1, v[2:3]
	v_mov_b32_e32 v3, s8
	v_add_co_u32_e32 v2, vcc, s2, v6
	v_addc_co_u32_e32 v3, vcc, v7, v3, vcc
	global_store_dwordx2 v[2:3], v[0:1], off
.LBB0_15:
	s_endpgm
	.section	.rodata,"a",@progbits
	.p2align	6, 0x0
	.amdhsa_kernel bluestein_single_fwd_len65_dim1_sp_op_CI_CI
		.amdhsa_group_segment_fixed_size 9880
		.amdhsa_private_segment_fixed_size 0
		.amdhsa_kernarg_size 104
		.amdhsa_user_sgpr_count 6
		.amdhsa_user_sgpr_private_segment_buffer 1
		.amdhsa_user_sgpr_dispatch_ptr 0
		.amdhsa_user_sgpr_queue_ptr 0
		.amdhsa_user_sgpr_kernarg_segment_ptr 1
		.amdhsa_user_sgpr_dispatch_id 0
		.amdhsa_user_sgpr_flat_scratch_init 0
		.amdhsa_user_sgpr_private_segment_size 0
		.amdhsa_uses_dynamic_stack 0
		.amdhsa_system_sgpr_private_segment_wavefront_offset 0
		.amdhsa_system_sgpr_workgroup_id_x 1
		.amdhsa_system_sgpr_workgroup_id_y 0
		.amdhsa_system_sgpr_workgroup_id_z 0
		.amdhsa_system_sgpr_workgroup_info 0
		.amdhsa_system_vgpr_workitem_id 0
		.amdhsa_next_free_vgpr 131
		.amdhsa_next_free_sgpr 16
		.amdhsa_reserve_vcc 1
		.amdhsa_reserve_flat_scratch 0
		.amdhsa_float_round_mode_32 0
		.amdhsa_float_round_mode_16_64 0
		.amdhsa_float_denorm_mode_32 3
		.amdhsa_float_denorm_mode_16_64 3
		.amdhsa_dx10_clamp 1
		.amdhsa_ieee_mode 1
		.amdhsa_fp16_overflow 0
		.amdhsa_exception_fp_ieee_invalid_op 0
		.amdhsa_exception_fp_denorm_src 0
		.amdhsa_exception_fp_ieee_div_zero 0
		.amdhsa_exception_fp_ieee_overflow 0
		.amdhsa_exception_fp_ieee_underflow 0
		.amdhsa_exception_fp_ieee_inexact 0
		.amdhsa_exception_int_div_zero 0
	.end_amdhsa_kernel
	.text
.Lfunc_end0:
	.size	bluestein_single_fwd_len65_dim1_sp_op_CI_CI, .Lfunc_end0-bluestein_single_fwd_len65_dim1_sp_op_CI_CI
                                        ; -- End function
	.section	.AMDGPU.csdata,"",@progbits
; Kernel info:
; codeLenInByte = 10100
; NumSgprs: 20
; NumVgprs: 131
; ScratchSize: 0
; MemoryBound: 0
; FloatMode: 240
; IeeeMode: 1
; LDSByteSize: 9880 bytes/workgroup (compile time only)
; SGPRBlocks: 2
; VGPRBlocks: 32
; NumSGPRsForWavesPerEU: 20
; NumVGPRsForWavesPerEU: 131
; Occupancy: 1
; WaveLimiterHint : 1
; COMPUTE_PGM_RSRC2:SCRATCH_EN: 0
; COMPUTE_PGM_RSRC2:USER_SGPR: 6
; COMPUTE_PGM_RSRC2:TRAP_HANDLER: 0
; COMPUTE_PGM_RSRC2:TGID_X_EN: 1
; COMPUTE_PGM_RSRC2:TGID_Y_EN: 0
; COMPUTE_PGM_RSRC2:TGID_Z_EN: 0
; COMPUTE_PGM_RSRC2:TIDIG_COMP_CNT: 0
	.type	__hip_cuid_430b9d9a71b8519c,@object ; @__hip_cuid_430b9d9a71b8519c
	.section	.bss,"aw",@nobits
	.globl	__hip_cuid_430b9d9a71b8519c
__hip_cuid_430b9d9a71b8519c:
	.byte	0                               ; 0x0
	.size	__hip_cuid_430b9d9a71b8519c, 1

	.ident	"AMD clang version 19.0.0git (https://github.com/RadeonOpenCompute/llvm-project roc-6.4.0 25133 c7fe45cf4b819c5991fe208aaa96edf142730f1d)"
	.section	".note.GNU-stack","",@progbits
	.addrsig
	.addrsig_sym __hip_cuid_430b9d9a71b8519c
	.amdgpu_metadata
---
amdhsa.kernels:
  - .args:
      - .actual_access:  read_only
        .address_space:  global
        .offset:         0
        .size:           8
        .value_kind:     global_buffer
      - .actual_access:  read_only
        .address_space:  global
        .offset:         8
        .size:           8
        .value_kind:     global_buffer
      - .actual_access:  read_only
        .address_space:  global
        .offset:         16
        .size:           8
        .value_kind:     global_buffer
      - .actual_access:  read_only
        .address_space:  global
        .offset:         24
        .size:           8
        .value_kind:     global_buffer
      - .actual_access:  read_only
        .address_space:  global
        .offset:         32
        .size:           8
        .value_kind:     global_buffer
      - .offset:         40
        .size:           8
        .value_kind:     by_value
      - .address_space:  global
        .offset:         48
        .size:           8
        .value_kind:     global_buffer
      - .address_space:  global
        .offset:         56
        .size:           8
        .value_kind:     global_buffer
      - .address_space:  global
        .offset:         64
        .size:           8
        .value_kind:     global_buffer
      - .address_space:  global
        .offset:         72
        .size:           8
        .value_kind:     global_buffer
      - .offset:         80
        .size:           4
        .value_kind:     by_value
      - .address_space:  global
        .offset:         88
        .size:           8
        .value_kind:     global_buffer
      - .address_space:  global
        .offset:         96
        .size:           8
        .value_kind:     global_buffer
    .group_segment_fixed_size: 9880
    .kernarg_segment_align: 8
    .kernarg_segment_size: 104
    .language:       OpenCL C
    .language_version:
      - 2
      - 0
    .max_flat_workgroup_size: 247
    .name:           bluestein_single_fwd_len65_dim1_sp_op_CI_CI
    .private_segment_fixed_size: 0
    .sgpr_count:     20
    .sgpr_spill_count: 0
    .symbol:         bluestein_single_fwd_len65_dim1_sp_op_CI_CI.kd
    .uniform_work_group_size: 1
    .uses_dynamic_stack: false
    .vgpr_count:     131
    .vgpr_spill_count: 0
    .wavefront_size: 64
amdhsa.target:   amdgcn-amd-amdhsa--gfx906
amdhsa.version:
  - 1
  - 2
...

	.end_amdgpu_metadata
